;; amdgpu-corpus repo=ROCm/rocFFT kind=compiled arch=gfx906 opt=O3
	.text
	.amdgcn_target "amdgcn-amd-amdhsa--gfx906"
	.amdhsa_code_object_version 6
	.protected	fft_rtc_back_len1620_factors_10_3_3_6_3_wgs_162_tpt_162_halfLds_sp_ip_CI_unitstride_sbrr_C2R_dirReg ; -- Begin function fft_rtc_back_len1620_factors_10_3_3_6_3_wgs_162_tpt_162_halfLds_sp_ip_CI_unitstride_sbrr_C2R_dirReg
	.globl	fft_rtc_back_len1620_factors_10_3_3_6_3_wgs_162_tpt_162_halfLds_sp_ip_CI_unitstride_sbrr_C2R_dirReg
	.p2align	8
	.type	fft_rtc_back_len1620_factors_10_3_3_6_3_wgs_162_tpt_162_halfLds_sp_ip_CI_unitstride_sbrr_C2R_dirReg,@function
fft_rtc_back_len1620_factors_10_3_3_6_3_wgs_162_tpt_162_halfLds_sp_ip_CI_unitstride_sbrr_C2R_dirReg: ; @fft_rtc_back_len1620_factors_10_3_3_6_3_wgs_162_tpt_162_halfLds_sp_ip_CI_unitstride_sbrr_C2R_dirReg
; %bb.0:
	s_load_dwordx2 s[12:13], s[4:5], 0x50
	s_load_dwordx4 s[8:11], s[4:5], 0x0
	s_load_dwordx2 s[2:3], s[4:5], 0x18
	v_mul_u32_u24_e32 v1, 0x195, v0
	v_add_u32_sdwa v5, s6, v1 dst_sel:DWORD dst_unused:UNUSED_PAD src0_sel:DWORD src1_sel:WORD_1
	v_mov_b32_e32 v3, 0
	s_waitcnt lgkmcnt(0)
	v_cmp_lt_u64_e64 s[0:1], s[10:11], 2
	v_mov_b32_e32 v1, 0
	v_mov_b32_e32 v6, v3
	s_and_b64 vcc, exec, s[0:1]
	v_mov_b32_e32 v2, 0
	s_cbranch_vccnz .LBB0_8
; %bb.1:
	s_load_dwordx2 s[0:1], s[4:5], 0x10
	s_add_u32 s6, s2, 8
	s_addc_u32 s7, s3, 0
	v_mov_b32_e32 v1, 0
	v_mov_b32_e32 v2, 0
	s_waitcnt lgkmcnt(0)
	s_add_u32 s14, s0, 8
	s_addc_u32 s15, s1, 0
	s_mov_b64 s[16:17], 1
.LBB0_2:                                ; =>This Inner Loop Header: Depth=1
	s_load_dwordx2 s[18:19], s[14:15], 0x0
                                        ; implicit-def: $vgpr7_vgpr8
	s_waitcnt lgkmcnt(0)
	v_or_b32_e32 v4, s19, v6
	v_cmp_ne_u64_e32 vcc, 0, v[3:4]
	s_and_saveexec_b64 s[0:1], vcc
	s_xor_b64 s[20:21], exec, s[0:1]
	s_cbranch_execz .LBB0_4
; %bb.3:                                ;   in Loop: Header=BB0_2 Depth=1
	v_cvt_f32_u32_e32 v4, s18
	v_cvt_f32_u32_e32 v7, s19
	s_sub_u32 s0, 0, s18
	s_subb_u32 s1, 0, s19
	v_mac_f32_e32 v4, 0x4f800000, v7
	v_rcp_f32_e32 v4, v4
	v_mul_f32_e32 v4, 0x5f7ffffc, v4
	v_mul_f32_e32 v7, 0x2f800000, v4
	v_trunc_f32_e32 v7, v7
	v_mac_f32_e32 v4, 0xcf800000, v7
	v_cvt_u32_f32_e32 v7, v7
	v_cvt_u32_f32_e32 v4, v4
	v_mul_lo_u32 v8, s0, v7
	v_mul_hi_u32 v9, s0, v4
	v_mul_lo_u32 v11, s1, v4
	v_mul_lo_u32 v10, s0, v4
	v_add_u32_e32 v8, v9, v8
	v_add_u32_e32 v8, v8, v11
	v_mul_hi_u32 v9, v4, v10
	v_mul_lo_u32 v11, v4, v8
	v_mul_hi_u32 v13, v4, v8
	v_mul_hi_u32 v12, v7, v10
	v_mul_lo_u32 v10, v7, v10
	v_mul_hi_u32 v14, v7, v8
	v_add_co_u32_e32 v9, vcc, v9, v11
	v_addc_co_u32_e32 v11, vcc, 0, v13, vcc
	v_mul_lo_u32 v8, v7, v8
	v_add_co_u32_e32 v9, vcc, v9, v10
	v_addc_co_u32_e32 v9, vcc, v11, v12, vcc
	v_addc_co_u32_e32 v10, vcc, 0, v14, vcc
	v_add_co_u32_e32 v8, vcc, v9, v8
	v_addc_co_u32_e32 v9, vcc, 0, v10, vcc
	v_add_co_u32_e32 v4, vcc, v4, v8
	v_addc_co_u32_e32 v7, vcc, v7, v9, vcc
	v_mul_lo_u32 v8, s0, v7
	v_mul_hi_u32 v9, s0, v4
	v_mul_lo_u32 v10, s1, v4
	v_mul_lo_u32 v11, s0, v4
	v_add_u32_e32 v8, v9, v8
	v_add_u32_e32 v8, v8, v10
	v_mul_lo_u32 v12, v4, v8
	v_mul_hi_u32 v13, v4, v11
	v_mul_hi_u32 v14, v4, v8
	;; [unrolled: 1-line block ×3, first 2 shown]
	v_mul_lo_u32 v11, v7, v11
	v_mul_hi_u32 v9, v7, v8
	v_add_co_u32_e32 v12, vcc, v13, v12
	v_addc_co_u32_e32 v13, vcc, 0, v14, vcc
	v_mul_lo_u32 v8, v7, v8
	v_add_co_u32_e32 v11, vcc, v12, v11
	v_addc_co_u32_e32 v10, vcc, v13, v10, vcc
	v_addc_co_u32_e32 v9, vcc, 0, v9, vcc
	v_add_co_u32_e32 v8, vcc, v10, v8
	v_addc_co_u32_e32 v9, vcc, 0, v9, vcc
	v_add_co_u32_e32 v4, vcc, v4, v8
	v_addc_co_u32_e32 v9, vcc, v7, v9, vcc
	v_mad_u64_u32 v[7:8], s[0:1], v5, v9, 0
	v_mul_hi_u32 v10, v5, v4
	v_add_co_u32_e32 v11, vcc, v10, v7
	v_addc_co_u32_e32 v12, vcc, 0, v8, vcc
	v_mad_u64_u32 v[7:8], s[0:1], v6, v4, 0
	v_mad_u64_u32 v[9:10], s[0:1], v6, v9, 0
	v_add_co_u32_e32 v4, vcc, v11, v7
	v_addc_co_u32_e32 v4, vcc, v12, v8, vcc
	v_addc_co_u32_e32 v7, vcc, 0, v10, vcc
	v_add_co_u32_e32 v4, vcc, v4, v9
	v_addc_co_u32_e32 v9, vcc, 0, v7, vcc
	v_mul_lo_u32 v10, s19, v4
	v_mul_lo_u32 v11, s18, v9
	v_mad_u64_u32 v[7:8], s[0:1], s18, v4, 0
	v_add3_u32 v8, v8, v11, v10
	v_sub_u32_e32 v10, v6, v8
	v_mov_b32_e32 v11, s19
	v_sub_co_u32_e32 v7, vcc, v5, v7
	v_subb_co_u32_e64 v10, s[0:1], v10, v11, vcc
	v_subrev_co_u32_e64 v11, s[0:1], s18, v7
	v_subbrev_co_u32_e64 v10, s[0:1], 0, v10, s[0:1]
	v_cmp_le_u32_e64 s[0:1], s19, v10
	v_cndmask_b32_e64 v12, 0, -1, s[0:1]
	v_cmp_le_u32_e64 s[0:1], s18, v11
	v_cndmask_b32_e64 v11, 0, -1, s[0:1]
	v_cmp_eq_u32_e64 s[0:1], s19, v10
	v_cndmask_b32_e64 v10, v12, v11, s[0:1]
	v_add_co_u32_e64 v11, s[0:1], 2, v4
	v_addc_co_u32_e64 v12, s[0:1], 0, v9, s[0:1]
	v_add_co_u32_e64 v13, s[0:1], 1, v4
	v_addc_co_u32_e64 v14, s[0:1], 0, v9, s[0:1]
	v_subb_co_u32_e32 v8, vcc, v6, v8, vcc
	v_cmp_ne_u32_e64 s[0:1], 0, v10
	v_cmp_le_u32_e32 vcc, s19, v8
	v_cndmask_b32_e64 v10, v14, v12, s[0:1]
	v_cndmask_b32_e64 v12, 0, -1, vcc
	v_cmp_le_u32_e32 vcc, s18, v7
	v_cndmask_b32_e64 v7, 0, -1, vcc
	v_cmp_eq_u32_e32 vcc, s19, v8
	v_cndmask_b32_e32 v7, v12, v7, vcc
	v_cmp_ne_u32_e32 vcc, 0, v7
	v_cndmask_b32_e64 v7, v13, v11, s[0:1]
	v_cndmask_b32_e32 v8, v9, v10, vcc
	v_cndmask_b32_e32 v7, v4, v7, vcc
.LBB0_4:                                ;   in Loop: Header=BB0_2 Depth=1
	s_andn2_saveexec_b64 s[0:1], s[20:21]
	s_cbranch_execz .LBB0_6
; %bb.5:                                ;   in Loop: Header=BB0_2 Depth=1
	v_cvt_f32_u32_e32 v4, s18
	s_sub_i32 s20, 0, s18
	v_rcp_iflag_f32_e32 v4, v4
	v_mul_f32_e32 v4, 0x4f7ffffe, v4
	v_cvt_u32_f32_e32 v4, v4
	v_mul_lo_u32 v7, s20, v4
	v_mul_hi_u32 v7, v4, v7
	v_add_u32_e32 v4, v4, v7
	v_mul_hi_u32 v4, v5, v4
	v_mul_lo_u32 v7, v4, s18
	v_add_u32_e32 v8, 1, v4
	v_sub_u32_e32 v7, v5, v7
	v_subrev_u32_e32 v9, s18, v7
	v_cmp_le_u32_e32 vcc, s18, v7
	v_cndmask_b32_e32 v7, v7, v9, vcc
	v_cndmask_b32_e32 v4, v4, v8, vcc
	v_add_u32_e32 v8, 1, v4
	v_cmp_le_u32_e32 vcc, s18, v7
	v_cndmask_b32_e32 v7, v4, v8, vcc
	v_mov_b32_e32 v8, v3
.LBB0_6:                                ;   in Loop: Header=BB0_2 Depth=1
	s_or_b64 exec, exec, s[0:1]
	v_mul_lo_u32 v4, v8, s18
	v_mul_lo_u32 v11, v7, s19
	v_mad_u64_u32 v[9:10], s[0:1], v7, s18, 0
	s_load_dwordx2 s[0:1], s[6:7], 0x0
	s_add_u32 s16, s16, 1
	v_add3_u32 v4, v10, v11, v4
	v_sub_co_u32_e32 v5, vcc, v5, v9
	v_subb_co_u32_e32 v4, vcc, v6, v4, vcc
	s_waitcnt lgkmcnt(0)
	v_mul_lo_u32 v4, s0, v4
	v_mul_lo_u32 v6, s1, v5
	v_mad_u64_u32 v[1:2], s[0:1], s0, v5, v[1:2]
	s_addc_u32 s17, s17, 0
	s_add_u32 s6, s6, 8
	v_add3_u32 v2, v6, v2, v4
	v_mov_b32_e32 v4, s10
	v_mov_b32_e32 v5, s11
	s_addc_u32 s7, s7, 0
	v_cmp_ge_u64_e32 vcc, s[16:17], v[4:5]
	s_add_u32 s14, s14, 8
	s_addc_u32 s15, s15, 0
	s_cbranch_vccnz .LBB0_9
; %bb.7:                                ;   in Loop: Header=BB0_2 Depth=1
	v_mov_b32_e32 v5, v7
	v_mov_b32_e32 v6, v8
	s_branch .LBB0_2
.LBB0_8:
	v_mov_b32_e32 v8, v6
	v_mov_b32_e32 v7, v5
.LBB0_9:
	s_lshl_b64 s[0:1], s[10:11], 3
	s_add_u32 s0, s2, s0
	s_addc_u32 s1, s3, s1
	s_load_dwordx2 s[2:3], s[0:1], 0x0
	s_load_dwordx2 s[6:7], s[4:5], 0x20
	s_waitcnt lgkmcnt(0)
	v_mad_u64_u32 v[1:2], s[0:1], s2, v7, v[1:2]
	v_mul_lo_u32 v3, s2, v8
	v_mul_lo_u32 v4, s3, v7
	s_mov_b32 s0, 0x1948b10
	v_mul_hi_u32 v5, v0, s0
	v_cmp_gt_u64_e64 s[0:1], s[6:7], v[7:8]
	v_add3_u32 v2, v4, v2, v3
	v_lshlrev_b64 v[18:19], 3, v[1:2]
	v_mul_u32_u24_e32 v3, 0xa2, v5
	v_sub_u32_e32 v16, v0, v3
	s_and_saveexec_b64 s[2:3], s[0:1]
	s_cbranch_execz .LBB0_13
; %bb.10:
	v_mov_b32_e32 v17, 0
	v_mov_b32_e32 v0, s13
	v_add_co_u32_e32 v1, vcc, s12, v18
	v_lshlrev_b64 v[2:3], 3, v[16:17]
	v_addc_co_u32_e32 v0, vcc, v0, v19, vcc
	v_add_co_u32_e32 v2, vcc, v1, v2
	v_addc_co_u32_e32 v3, vcc, v0, v3, vcc
	s_movk_i32 s4, 0x1000
	v_add_co_u32_e32 v6, vcc, s4, v2
	v_addc_co_u32_e32 v7, vcc, 0, v3, vcc
	v_add_co_u32_e32 v8, vcc, 0x2000, v2
	global_load_dwordx2 v[4:5], v[2:3], off offset:3888
	v_addc_co_u32_e32 v9, vcc, 0, v3, vcc
	global_load_dwordx2 v[10:11], v[2:3], off
	global_load_dwordx2 v[12:13], v[2:3], off offset:2592
	global_load_dwordx2 v[14:15], v[2:3], off offset:1296
	;; [unrolled: 1-line block ×8, first 2 shown]
	v_lshl_add_u32 v2, v16, 3, 0
	s_movk_i32 s4, 0xa1
	v_add_u32_e32 v3, 0x800, v2
	v_cmp_eq_u32_e32 vcc, s4, v16
	v_add_u32_e32 v6, 0x1400, v2
	v_add_u32_e32 v7, 0x1c00, v2
	;; [unrolled: 1-line block ×3, first 2 shown]
	s_waitcnt vmcnt(7)
	ds_write2_b64 v3, v[12:13], v[4:5] offset0:68 offset1:230
	s_waitcnt vmcnt(6)
	ds_write2_b64 v2, v[10:11], v[14:15] offset1:162
	s_waitcnt vmcnt(4)
	ds_write2_b64 v6, v[20:21], v[22:23] offset0:8 offset1:170
	s_waitcnt vmcnt(2)
	ds_write2_b64 v7, v[24:25], v[26:27] offset0:76 offset1:238
	;; [unrolled: 2-line block ×3, first 2 shown]
	s_and_saveexec_b64 s[4:5], vcc
	s_cbranch_execz .LBB0_12
; %bb.11:
	v_add_co_u32_e32 v1, vcc, 0x3000, v1
	v_addc_co_u32_e32 v2, vcc, 0, v0, vcc
	global_load_dwordx2 v[0:1], v[1:2], off offset:672
	v_mov_b32_e32 v16, 0xa1
	s_waitcnt vmcnt(0)
	ds_write_b64 v17, v[0:1] offset:12960
.LBB0_12:
	s_or_b64 exec, exec, s[4:5]
.LBB0_13:
	s_or_b64 exec, exec, s[2:3]
	v_lshlrev_b32_e32 v0, 3, v16
	v_add_u32_e32 v30, 0, v0
	s_waitcnt lgkmcnt(0)
	s_barrier
	v_sub_u32_e32 v4, 0, v0
	ds_read_b32 v5, v30
	ds_read_b32 v6, v4 offset:12960
	s_add_u32 s4, s8, 0x3250
	s_addc_u32 s5, s9, 0
	v_cmp_ne_u32_e32 vcc, 0, v16
                                        ; implicit-def: $vgpr2_vgpr3
	s_waitcnt lgkmcnt(0)
	v_add_f32_e32 v0, v6, v5
	v_sub_f32_e32 v1, v5, v6
	s_and_saveexec_b64 s[2:3], vcc
	s_xor_b64 s[2:3], exec, s[2:3]
	s_cbranch_execz .LBB0_15
; %bb.14:
	v_mov_b32_e32 v17, 0
	v_lshlrev_b64 v[0:1], 3, v[16:17]
	v_mov_b32_e32 v2, s5
	v_add_co_u32_e32 v0, vcc, s4, v0
	v_addc_co_u32_e32 v1, vcc, v2, v1, vcc
	global_load_dwordx2 v[2:3], v[0:1], off
	ds_read_b32 v0, v4 offset:12964
	ds_read_b32 v1, v30 offset:4
	v_add_f32_e32 v7, v6, v5
	v_sub_f32_e32 v8, v5, v6
	s_waitcnt lgkmcnt(0)
	v_add_f32_e32 v9, v0, v1
	v_sub_f32_e32 v0, v1, v0
	s_waitcnt vmcnt(0)
	v_fma_f32 v10, v8, v3, v7
	v_fma_f32 v1, v9, v3, v0
	v_fma_f32 v5, -v8, v3, v7
	v_fma_f32 v6, v9, v3, -v0
	v_fma_f32 v0, -v2, v9, v10
	v_fmac_f32_e32 v1, v8, v2
	v_fmac_f32_e32 v5, v2, v9
	;; [unrolled: 1-line block ×3, first 2 shown]
	v_mov_b32_e32 v2, v16
	ds_write_b64 v4, v[5:6] offset:12960
	v_mov_b32_e32 v3, v17
.LBB0_15:
	s_andn2_saveexec_b64 s[2:3], s[2:3]
	s_cbranch_execz .LBB0_17
; %bb.16:
	v_mov_b32_e32 v7, 0
	ds_read_b64 v[2:3], v7 offset:6480
	s_waitcnt lgkmcnt(0)
	v_add_f32_e32 v5, v2, v2
	v_mul_f32_e32 v6, -2.0, v3
	v_mov_b32_e32 v2, 0
	v_mov_b32_e32 v3, 0
	ds_write_b64 v7, v[5:6] offset:6480
.LBB0_17:
	s_or_b64 exec, exec, s[2:3]
	v_lshlrev_b64 v[2:3], 3, v[2:3]
	v_mov_b32_e32 v5, s5
	v_add_co_u32_e32 v2, vcc, s4, v2
	v_addc_co_u32_e32 v3, vcc, v5, v3, vcc
	global_load_dwordx2 v[5:6], v[2:3], off offset:1296
	global_load_dwordx2 v[7:8], v[2:3], off offset:2592
	;; [unrolled: 1-line block ×3, first 2 shown]
	s_movk_i32 s2, 0x1000
	v_add_co_u32_e32 v2, vcc, s2, v2
	v_addc_co_u32_e32 v3, vcc, 0, v3, vcc
	global_load_dwordx2 v[2:3], v[2:3], off offset:1088
	ds_write_b64 v30, v[0:1]
	ds_read_b64 v[0:1], v30 offset:1296
	ds_read_b64 v[11:12], v4 offset:11664
	v_add_u32_e32 v20, 0x2800, v30
	s_movk_i32 s2, 0x48
	v_mad_u32_u24 v49, v16, s2, v30
	v_cmp_gt_u32_e64 s[2:3], 54, v16
	s_waitcnt lgkmcnt(0)
	v_add_f32_e32 v13, v0, v11
	v_add_f32_e32 v14, v12, v1
	v_sub_f32_e32 v15, v0, v11
	v_sub_f32_e32 v0, v1, v12
	s_waitcnt vmcnt(3)
	v_fma_f32 v17, v15, v6, v13
	v_fma_f32 v1, v14, v6, v0
	v_fma_f32 v11, -v15, v6, v13
	v_fma_f32 v12, v14, v6, -v0
	v_fma_f32 v0, -v5, v14, v17
	v_fmac_f32_e32 v1, v15, v5
	v_fmac_f32_e32 v11, v5, v14
	;; [unrolled: 1-line block ×3, first 2 shown]
	ds_write_b64 v30, v[0:1] offset:1296
	ds_write_b64 v4, v[11:12] offset:11664
	ds_read_b64 v[0:1], v30 offset:2592
	ds_read_b64 v[5:6], v4 offset:10368
	v_add_u32_e32 v17, 0x1400, v30
	s_waitcnt lgkmcnt(0)
	v_add_f32_e32 v11, v0, v5
	v_add_f32_e32 v12, v6, v1
	v_sub_f32_e32 v13, v0, v5
	v_sub_f32_e32 v0, v1, v6
	s_waitcnt vmcnt(2)
	v_fma_f32 v14, v13, v8, v11
	v_fma_f32 v1, v12, v8, v0
	v_fma_f32 v5, -v13, v8, v11
	v_fma_f32 v6, v12, v8, -v0
	v_fma_f32 v0, -v7, v12, v14
	v_fmac_f32_e32 v1, v13, v7
	v_fmac_f32_e32 v5, v7, v12
	;; [unrolled: 1-line block ×3, first 2 shown]
	ds_write_b64 v30, v[0:1] offset:2592
	ds_write_b64 v4, v[5:6] offset:10368
	ds_read_b64 v[0:1], v30 offset:3888
	ds_read_b64 v[5:6], v4 offset:9072
	s_waitcnt lgkmcnt(0)
	v_add_f32_e32 v7, v0, v5
	v_add_f32_e32 v8, v6, v1
	v_sub_f32_e32 v11, v0, v5
	v_sub_f32_e32 v0, v1, v6
	s_waitcnt vmcnt(1)
	v_fma_f32 v12, v11, v10, v7
	v_fma_f32 v1, v8, v10, v0
	v_fma_f32 v5, -v11, v10, v7
	v_fma_f32 v6, v8, v10, -v0
	v_fma_f32 v0, -v9, v8, v12
	v_fmac_f32_e32 v1, v11, v9
	v_fmac_f32_e32 v5, v9, v8
	;; [unrolled: 1-line block ×3, first 2 shown]
	ds_write_b64 v30, v[0:1] offset:3888
	ds_write_b64 v4, v[5:6] offset:9072
	ds_read_b64 v[0:1], v30 offset:5184
	ds_read_b64 v[5:6], v4 offset:7776
	v_add_u32_e32 v7, 0x800, v30
	v_add_u32_e32 v12, 0x1c00, v30
	s_waitcnt lgkmcnt(0)
	v_add_f32_e32 v8, v0, v5
	v_add_f32_e32 v9, v6, v1
	v_sub_f32_e32 v10, v0, v5
	v_sub_f32_e32 v0, v1, v6
	s_waitcnt vmcnt(0)
	v_fma_f32 v11, v10, v3, v8
	v_fma_f32 v1, v9, v3, v0
	v_fma_f32 v5, -v10, v3, v8
	v_fma_f32 v6, v9, v3, -v0
	v_fma_f32 v0, -v2, v9, v11
	v_fmac_f32_e32 v1, v10, v2
	v_fmac_f32_e32 v5, v2, v9
	;; [unrolled: 1-line block ×3, first 2 shown]
	ds_write_b64 v30, v[0:1] offset:5184
	ds_write_b64 v4, v[5:6] offset:7776
	s_waitcnt lgkmcnt(0)
	s_barrier
	s_barrier
	ds_read2_b64 v[0:3], v30 offset1:162
	ds_read2_b64 v[4:7], v7 offset0:68 offset1:230
	ds_read2_b64 v[8:11], v17 offset0:8 offset1:170
	;; [unrolled: 1-line block ×4, first 2 shown]
	s_waitcnt lgkmcnt(0)
	s_barrier
	v_add_f32_e32 v24, v0, v4
	v_add_f32_e32 v26, v2, v6
	;; [unrolled: 1-line block ×4, first 2 shown]
	v_sub_f32_e32 v31, v4, v8
	v_sub_f32_e32 v32, v8, v4
	;; [unrolled: 1-line block ×3, first 2 shown]
	v_add_f32_e32 v37, v10, v14
	v_sub_f32_e32 v39, v6, v10
	v_sub_f32_e32 v40, v10, v6
	;; [unrolled: 1-line block ×3, first 2 shown]
	v_add_f32_e32 v8, v24, v8
	v_add_f32_e32 v10, v26, v10
	;; [unrolled: 1-line block ×3, first 2 shown]
	v_sub_f32_e32 v29, v9, v13
	v_add_f32_e32 v33, v9, v13
	v_sub_f32_e32 v35, v5, v9
	v_sub_f32_e32 v36, v9, v5
	v_add_f32_e32 v41, v11, v15
	v_add_f32_e32 v9, v25, v9
	;; [unrolled: 1-line block ×3, first 2 shown]
	v_sub_f32_e32 v26, v4, v20
	v_add_f32_e32 v46, v6, v22
	v_sub_f32_e32 v47, v6, v22
	v_add_f32_e32 v4, v8, v12
	v_add_f32_e32 v6, v10, v14
	v_sub_f32_e32 v8, v20, v12
	v_sub_f32_e32 v10, v21, v13
	;; [unrolled: 1-line block ×5, first 2 shown]
	v_add_f32_e32 v11, v27, v11
	v_sub_f32_e32 v24, v5, v21
	v_add_f32_e32 v27, v5, v21
	v_add_f32_e32 v5, v9, v13
	;; [unrolled: 1-line block ×4, first 2 shown]
	v_fma_f32 v31, -0.5, v37, v2
	v_fma_f32 v35, -0.5, v41, v3
	v_sub_f32_e32 v45, v7, v23
	v_add_f32_e32 v48, v7, v23
	v_add_f32_e32 v7, v11, v15
	v_sub_f32_e32 v9, v12, v20
	v_sub_f32_e32 v11, v13, v21
	v_add_f32_e32 v20, v4, v20
	v_add_f32_e32 v21, v5, v21
	v_mov_b32_e32 v4, v31
	v_mov_b32_e32 v5, v35
	v_sub_f32_e32 v12, v22, v14
	v_sub_f32_e32 v13, v14, v22
	;; [unrolled: 1-line block ×3, first 2 shown]
	v_fmac_f32_e32 v4, 0xbf737871, v45
	v_fmac_f32_e32 v5, 0x3f737871, v47
	v_fma_f32 v28, -0.5, v28, v0
	v_fma_f32 v33, -0.5, v33, v1
	v_add_f32_e32 v12, v39, v12
	v_add_f32_e32 v14, v43, v14
	v_fmac_f32_e32 v4, 0xbf167918, v38
	v_fmac_f32_e32 v5, 0x3f167918, v42
	v_mov_b32_e32 v41, v28
	v_mov_b32_e32 v43, v33
	v_fmac_f32_e32 v4, 0x3e9e377a, v12
	v_fmac_f32_e32 v5, 0x3e9e377a, v14
	;; [unrolled: 1-line block ×4, first 2 shown]
	v_mul_f32_e32 v37, 0xbf167918, v5
	v_mul_f32_e32 v39, 0x3f167918, v4
	v_fmac_f32_e32 v41, 0xbf167918, v29
	v_fmac_f32_e32 v43, 0x3f167918, v34
	v_sub_f32_e32 v15, v15, v23
	v_add_f32_e32 v22, v6, v22
	v_add_f32_e32 v23, v7, v23
	v_fmac_f32_e32 v37, 0x3f4f1bbd, v4
	v_fmac_f32_e32 v39, 0x3f4f1bbd, v5
	;; [unrolled: 1-line block ×4, first 2 shown]
	v_add_f32_e32 v4, v20, v22
	v_add_f32_e32 v5, v21, v23
	v_add_f32_e32 v6, v41, v37
	v_add_f32_e32 v7, v43, v39
	v_fmac_f32_e32 v3, -0.5, v48
	ds_write2_b64 v49, v[4:5], v[6:7] offset1:1
	v_fma_f32 v6, -0.5, v25, v0
	v_fma_f32 v7, -0.5, v27, v1
	v_mov_b32_e32 v1, v3
	v_fmac_f32_e32 v3, 0x3f737871, v42
	v_add_f32_e32 v4, v44, v15
	v_fmac_f32_e32 v3, 0xbf167918, v47
	v_mov_b32_e32 v5, v6
	v_fma_f32 v0, -0.5, v46, v2
	v_fmac_f32_e32 v3, 0x3e9e377a, v4
	v_add_f32_e32 v2, v32, v9
	v_fmac_f32_e32 v5, 0x3f737871, v29
	v_fmac_f32_e32 v6, 0xbf737871, v29
	v_mov_b32_e32 v9, v7
	v_mul_f32_e32 v15, 0xbf737871, v3
	v_mul_f32_e32 v25, 0xbe9e377a, v3
	v_fmac_f32_e32 v5, 0xbf167918, v24
	v_fmac_f32_e32 v6, 0x3f167918, v24
	v_fmac_f32_e32 v9, 0xbf737871, v34
	v_fmac_f32_e32 v7, 0x3f737871, v34
	v_mov_b32_e32 v3, v0
	v_fmac_f32_e32 v1, 0xbf737871, v42
	v_fmac_f32_e32 v5, 0x3e9e377a, v2
	;; [unrolled: 1-line block ×3, first 2 shown]
	v_add_f32_e32 v2, v36, v11
	v_fmac_f32_e32 v9, 0x3f167918, v26
	v_fmac_f32_e32 v7, 0xbf167918, v26
	;; [unrolled: 1-line block ×6, first 2 shown]
	v_add_f32_e32 v2, v40, v13
	v_fmac_f32_e32 v3, 0xbf167918, v45
	v_fmac_f32_e32 v0, 0xbf737871, v38
	;; [unrolled: 1-line block ×6, first 2 shown]
	v_mul_f32_e32 v4, 0xbf737871, v1
	v_mul_f32_e32 v11, 0x3e9e377a, v1
	v_fmac_f32_e32 v33, 0xbf737871, v26
	v_fmac_f32_e32 v31, 0x3f737871, v45
	;; [unrolled: 1-line block ×12, first 2 shown]
	v_add_f32_e32 v0, v5, v4
	v_add_f32_e32 v1, v9, v11
	v_sub_f32_e32 v4, v5, v4
	v_sub_f32_e32 v5, v9, v11
	v_fmac_f32_e32 v28, 0x3f167918, v29
	v_fmac_f32_e32 v33, 0x3e9e377a, v10
	;; [unrolled: 1-line block ×3, first 2 shown]
	v_mul_f32_e32 v10, 0xbf167918, v35
	v_mul_f32_e32 v11, 0xbf4f1bbd, v35
	v_add_f32_e32 v2, v6, v15
	v_add_f32_e32 v3, v7, v25
	v_fmac_f32_e32 v28, 0x3e9e377a, v8
	v_fmac_f32_e32 v10, 0xbf4f1bbd, v31
	;; [unrolled: 1-line block ×3, first 2 shown]
	ds_write2_b64 v49, v[0:1], v[2:3] offset0:2 offset1:3
	v_sub_f32_e32 v0, v20, v22
	v_sub_f32_e32 v1, v21, v23
	v_add_f32_e32 v8, v28, v10
	v_add_f32_e32 v9, v33, v11
	v_sub_f32_e32 v2, v41, v37
	v_sub_f32_e32 v3, v43, v39
	;; [unrolled: 1-line block ×6, first 2 shown]
	ds_write2_b64 v49, v[8:9], v[0:1] offset0:4 offset1:5
	ds_write2_b64 v49, v[2:3], v[4:5] offset0:6 offset1:7
	;; [unrolled: 1-line block ×3, first 2 shown]
	v_add_u32_e32 v0, 0xa00, v30
	v_add_u32_e32 v4, 0x2000, v30
	s_waitcnt lgkmcnt(0)
	s_barrier
	ds_read2_b64 v[0:3], v0 offset0:4 offset1:220
	ds_read2_b64 v[12:15], v4 offset0:56 offset1:218
	ds_read_b64 v[20:21], v30 offset:11232
	ds_read2_b64 v[8:11], v17 offset0:62 offset1:224
	ds_read2_b64 v[4:7], v30 offset1:162
                                        ; implicit-def: $vgpr25
                                        ; implicit-def: $vgpr27
	s_and_saveexec_b64 s[4:5], s[2:3]
	s_cbranch_execz .LBB0_19
; %bb.18:
	ds_read_b64 v[22:23], v30 offset:3888
	ds_read_b64 v[26:27], v30 offset:8208
	;; [unrolled: 1-line block ×3, first 2 shown]
.LBB0_19:
	s_or_b64 exec, exec, s[4:5]
	s_movk_i32 s4, 0xcd
	v_add_u32_e32 v31, 0xa2, v16
	v_mul_lo_u16_sdwa v17, v16, s4 dst_sel:DWORD dst_unused:UNUSED_PAD src0_sel:BYTE_0 src1_sel:DWORD
	s_mov_b32 s4, 0xcccd
	v_mul_u32_u24_sdwa v28, v31, s4 dst_sel:DWORD dst_unused:UNUSED_PAD src0_sel:WORD_0 src1_sel:DWORD
	v_add_u32_e32 v32, 0x144, v16
	v_lshrrev_b32_e32 v51, 19, v28
	v_mul_u32_u24_sdwa v28, v32, s4 dst_sel:DWORD dst_unused:UNUSED_PAD src0_sel:WORD_0 src1_sel:DWORD
	v_lshrrev_b16_e32 v49, 11, v17
	v_lshrrev_b32_e32 v53, 19, v28
	v_mul_lo_u16_e32 v17, 10, v49
	v_mul_lo_u16_e32 v28, 10, v53
	v_sub_u16_e32 v50, v16, v17
	v_mov_b32_e32 v17, 4
	v_sub_u16_e32 v54, v32, v28
	v_lshlrev_b32_sdwa v17, v17, v50 dst_sel:DWORD dst_unused:UNUSED_PAD src0_sel:DWORD src1_sel:BYTE_0
	v_lshlrev_b32_e32 v28, 4, v54
	global_load_dwordx4 v[33:36], v17, s[8:9]
	global_load_dwordx4 v[41:44], v28, s[8:9]
	v_mul_lo_u16_e32 v17, 10, v51
	v_sub_u16_e32 v52, v31, v17
	v_lshlrev_b32_e32 v17, 4, v52
	global_load_dwordx4 v[37:40], v17, s[8:9]
	v_add_u32_e32 v17, 0x1e6, v16
	v_mul_u32_u24_sdwa v28, v17, s4 dst_sel:DWORD dst_unused:UNUSED_PAD src0_sel:WORD_0 src1_sel:DWORD
	v_lshrrev_b32_e32 v28, 19, v28
	v_mul_lo_u16_e32 v29, 10, v28
	v_sub_u16_e32 v29, v17, v29
	v_lshlrev_b32_e32 v45, 4, v29
	global_load_dwordx4 v[45:48], v45, s[8:9]
	s_waitcnt vmcnt(0) lgkmcnt(0)
	s_barrier
	v_mul_f32_e32 v55, v34, v3
	v_mul_f32_e32 v34, v34, v2
	;; [unrolled: 1-line block ×4, first 2 shown]
	v_fmac_f32_e32 v55, v33, v2
	v_mul_f32_e32 v57, v38, v9
	v_mul_f32_e32 v38, v38, v8
	v_fma_f32 v2, v33, v3, -v34
	v_fma_f32 v3, v35, v13, -v36
	v_mul_f32_e32 v13, v42, v10
	v_mul_f32_e32 v58, v40, v15
	v_fmac_f32_e32 v56, v35, v12
	v_mul_f32_e32 v12, v40, v14
	v_mul_f32_e32 v33, v42, v11
	v_fmac_f32_e32 v57, v37, v8
	v_fma_f32 v8, v37, v9, -v38
	v_fma_f32 v37, v41, v11, -v13
	v_add_f32_e32 v13, v2, v3
	v_mul_f32_e32 v34, v44, v21
	v_fmac_f32_e32 v58, v39, v14
	v_fma_f32 v12, v39, v15, -v12
	v_mul_f32_e32 v14, v44, v20
	v_mul_f32_e32 v15, v26, v46
	;; [unrolled: 1-line block ×4, first 2 shown]
	v_fmac_f32_e32 v33, v41, v10
	v_add_f32_e32 v10, v55, v56
	v_add_f32_e32 v11, v5, v2
	v_fma_f32 v5, -0.5, v13, v5
	v_fmac_f32_e32 v34, v43, v20
	v_fma_f32 v20, v43, v21, -v14
	v_fma_f32 v38, v27, v45, -v15
	v_fmac_f32_e32 v36, v24, v47
	v_fma_f32 v25, v25, v47, -v9
	v_add_f32_e32 v9, v4, v55
	v_sub_f32_e32 v14, v2, v3
	v_sub_f32_e32 v15, v55, v56
	v_add_f32_e32 v24, v57, v58
	v_fma_f32 v4, -0.5, v10, v4
	v_add_f32_e32 v3, v11, v3
	v_mov_b32_e32 v11, v5
	v_mul_f32_e32 v35, v27, v46
	v_add_f32_e32 v21, v6, v57
	v_add_f32_e32 v27, v7, v8
	v_fma_f32 v6, -0.5, v24, v6
	v_mov_b32_e32 v10, v4
	v_fmac_f32_e32 v5, 0xbf5db3d7, v15
	v_fmac_f32_e32 v11, 0x3f5db3d7, v15
	v_add_f32_e32 v15, v33, v34
	v_fmac_f32_e32 v35, v26, v45
	v_sub_f32_e32 v26, v8, v12
	v_add_f32_e32 v39, v8, v12
	v_add_f32_e32 v2, v9, v56
	;; [unrolled: 1-line block ×3, first 2 shown]
	v_fmac_f32_e32 v4, 0x3f5db3d7, v14
	v_mov_b32_e32 v12, v6
	v_fmac_f32_e32 v10, 0xbf5db3d7, v14
	v_add_f32_e32 v14, v0, v33
	v_fma_f32 v0, -0.5, v15, v0
	v_fmac_f32_e32 v6, 0x3f5db3d7, v26
	v_fmac_f32_e32 v12, 0xbf5db3d7, v26
	v_sub_f32_e32 v15, v37, v20
	v_mov_b32_e32 v26, v0
	v_fmac_f32_e32 v26, 0xbf5db3d7, v15
	v_fmac_f32_e32 v0, 0x3f5db3d7, v15
	v_add_f32_e32 v15, v1, v37
	v_add_f32_e32 v15, v15, v20
	;; [unrolled: 1-line block ×3, first 2 shown]
	v_fmac_f32_e32 v1, -0.5, v20
	v_add_f32_e32 v8, v21, v58
	v_sub_f32_e32 v20, v33, v34
	v_mov_b32_e32 v27, v1
	v_add_f32_e32 v21, v35, v36
	v_fmac_f32_e32 v27, 0x3f5db3d7, v20
	v_fmac_f32_e32 v1, 0xbf5db3d7, v20
	v_add_f32_e32 v20, v22, v35
	v_fmac_f32_e32 v22, -0.5, v21
	v_sub_f32_e32 v21, v38, v25
	v_mov_b32_e32 v24, v22
	v_fmac_f32_e32 v24, 0xbf5db3d7, v21
	v_fmac_f32_e32 v22, 0x3f5db3d7, v21
	v_add_f32_e32 v21, v23, v38
	v_add_f32_e32 v21, v21, v25
	;; [unrolled: 1-line block ×3, first 2 shown]
	v_fmac_f32_e32 v23, -0.5, v25
	v_add_f32_e32 v14, v14, v34
	v_sub_f32_e32 v33, v35, v36
	v_mov_b32_e32 v25, v23
	v_mov_b32_e32 v34, 3
	v_fmac_f32_e32 v25, 0x3f5db3d7, v33
	v_fmac_f32_e32 v23, 0xbf5db3d7, v33
	v_mul_u32_u24_e32 v33, 0xf0, v49
	v_lshlrev_b32_sdwa v34, v34, v50 dst_sel:DWORD dst_unused:UNUSED_PAD src0_sel:DWORD src1_sel:BYTE_0
	v_fmac_f32_e32 v7, -0.5, v39
	v_add3_u32 v33, 0, v33, v34
	v_sub_f32_e32 v40, v57, v58
	v_mov_b32_e32 v13, v7
	ds_write2_b64 v33, v[2:3], v[10:11] offset1:10
	ds_write_b64 v33, v[4:5] offset:160
	v_mul_u32_u24_e32 v2, 0xf0, v51
	v_lshlrev_b32_e32 v3, 3, v52
	v_fmac_f32_e32 v13, 0x3f5db3d7, v40
	v_add3_u32 v2, 0, v2, v3
	v_fmac_f32_e32 v7, 0xbf5db3d7, v40
	ds_write2_b64 v2, v[8:9], v[12:13] offset1:10
	ds_write_b64 v2, v[6:7] offset:160
	v_mul_u32_u24_e32 v2, 0xf0, v53
	v_lshlrev_b32_e32 v3, 3, v54
	v_add_f32_e32 v20, v20, v36
	v_add3_u32 v2, 0, v2, v3
	ds_write2_b64 v2, v[14:15], v[26:27] offset1:10
	ds_write_b64 v2, v[0:1] offset:160
	s_and_saveexec_b64 s[4:5], s[2:3]
	s_cbranch_execz .LBB0_21
; %bb.20:
	v_mul_lo_u16_e32 v0, 30, v28
	v_lshlrev_b32_e32 v1, 3, v29
	v_lshlrev_b32_e32 v0, 3, v0
	v_add3_u32 v0, 0, v1, v0
	ds_write2_b64 v0, v[20:21], v[24:25] offset1:10
	ds_write_b64 v0, v[22:23] offset:160
.LBB0_21:
	s_or_b64 exec, exec, s[4:5]
	v_add_u32_e32 v8, 0x2000, v30
	s_waitcnt lgkmcnt(0)
	s_barrier
	v_add_u32_e32 v0, 0xa00, v30
	ds_read2_b64 v[12:15], v8 offset0:56 offset1:218
	v_add_u32_e32 v8, 0x1400, v30
	ds_read2_b64 v[4:7], v30 offset1:162
	ds_read2_b64 v[0:3], v0 offset0:4 offset1:220
	ds_read2_b64 v[8:11], v8 offset0:62 offset1:224
	ds_read_b64 v[26:27], v30 offset:11232
	s_and_saveexec_b64 s[4:5], s[2:3]
	s_cbranch_execz .LBB0_23
; %bb.22:
	ds_read_b64 v[20:21], v30 offset:3888
	ds_read_b64 v[24:25], v30 offset:8208
	;; [unrolled: 1-line block ×3, first 2 shown]
.LBB0_23:
	s_or_b64 exec, exec, s[4:5]
	s_movk_i32 s4, 0x89
	v_mul_lo_u16_sdwa v28, v16, s4 dst_sel:DWORD dst_unused:UNUSED_PAD src0_sel:BYTE_0 src1_sel:DWORD
	v_lshrrev_b16_e32 v49, 12, v28
	v_mul_lo_u16_e32 v28, 30, v49
	s_mov_b32 s4, 0x8889
	v_sub_u16_e32 v50, v16, v28
	v_mov_b32_e32 v28, 4
	v_mul_u32_u24_sdwa v29, v31, s4 dst_sel:DWORD dst_unused:UNUSED_PAD src0_sel:WORD_0 src1_sel:DWORD
	v_lshlrev_b32_sdwa v28, v28, v50 dst_sel:DWORD dst_unused:UNUSED_PAD src0_sel:DWORD src1_sel:BYTE_0
	v_lshrrev_b32_e32 v51, 20, v29
	global_load_dwordx4 v[33:36], v28, s[8:9] offset:160
	v_mul_lo_u16_e32 v28, 30, v51
	v_sub_u16_e32 v52, v31, v28
	v_lshlrev_b32_e32 v28, 4, v52
	global_load_dwordx4 v[37:40], v28, s[8:9] offset:160
	v_mul_u32_u24_sdwa v28, v32, s4 dst_sel:DWORD dst_unused:UNUSED_PAD src0_sel:WORD_0 src1_sel:DWORD
	v_lshrrev_b32_e32 v53, 20, v28
	v_mul_lo_u16_e32 v28, 30, v53
	v_sub_u16_e32 v54, v32, v28
	v_lshlrev_b32_e32 v28, 4, v54
	global_load_dwordx4 v[41:44], v28, s[8:9] offset:160
	v_mul_u32_u24_sdwa v28, v17, s4 dst_sel:DWORD dst_unused:UNUSED_PAD src0_sel:WORD_0 src1_sel:DWORD
	v_lshrrev_b32_e32 v28, 20, v28
	v_mul_lo_u16_e32 v29, 30, v28
	v_sub_u16_e32 v29, v17, v29
	v_lshlrev_b32_e32 v45, 4, v29
	global_load_dwordx4 v[45:48], v45, s[8:9] offset:160
	s_waitcnt vmcnt(0) lgkmcnt(0)
	s_barrier
	v_mul_f32_e32 v55, v34, v3
	v_mul_f32_e32 v34, v34, v2
	;; [unrolled: 1-line block ×5, first 2 shown]
	v_fmac_f32_e32 v55, v33, v2
	v_fma_f32 v2, v33, v3, -v34
	v_fmac_f32_e32 v56, v35, v12
	v_fma_f32 v3, v35, v13, -v36
	v_mul_f32_e32 v12, v40, v14
	v_mul_f32_e32 v33, v42, v11
	;; [unrolled: 1-line block ×6, first 2 shown]
	v_fmac_f32_e32 v58, v39, v14
	v_fma_f32 v35, v39, v15, -v12
	v_mul_f32_e32 v14, v24, v46
	v_fmac_f32_e32 v33, v41, v10
	v_fma_f32 v10, v41, v11, -v13
	v_fmac_f32_e32 v34, v43, v26
	v_add_f32_e32 v13, v55, v56
	v_add_f32_e32 v15, v5, v2
	v_mul_f32_e32 v12, v44, v26
	v_fmac_f32_e32 v57, v37, v8
	v_fma_f32 v8, v37, v9, -v38
	v_fma_f32 v37, v25, v45, -v14
	v_sub_f32_e32 v40, v2, v3
	v_add_f32_e32 v2, v2, v3
	v_fma_f32 v14, -0.5, v13, v4
	v_add_f32_e32 v13, v15, v3
	v_add_f32_e32 v3, v33, v34
	v_mul_f32_e32 v9, v22, v48
	v_fma_f32 v11, v43, v27, -v12
	v_add_f32_e32 v44, v0, v33
	v_fma_f32 v0, -0.5, v3, v0
	v_mul_f32_e32 v36, v25, v46
	v_mul_f32_e32 v39, v23, v48
	v_fma_f32 v38, v23, v47, -v9
	v_add_f32_e32 v9, v4, v55
	v_fma_f32 v15, -0.5, v2, v5
	v_sub_f32_e32 v3, v10, v11
	v_mov_b32_e32 v4, v0
	v_add_f32_e32 v5, v10, v11
	v_fmac_f32_e32 v36, v24, v45
	v_fmac_f32_e32 v39, v22, v47
	v_sub_f32_e32 v42, v8, v35
	v_add_f32_e32 v24, v7, v8
	v_add_f32_e32 v8, v8, v35
	v_fmac_f32_e32 v4, 0xbf5db3d7, v3
	v_fmac_f32_e32 v0, 0x3f5db3d7, v3
	v_add_f32_e32 v3, v1, v10
	v_fmac_f32_e32 v1, -0.5, v5
	v_add_f32_e32 v12, v9, v56
	v_fmac_f32_e32 v7, -0.5, v8
	v_sub_f32_e32 v8, v33, v34
	v_mov_b32_e32 v5, v1
	v_add_f32_e32 v9, v36, v39
	v_fmac_f32_e32 v5, 0x3f5db3d7, v8
	v_fmac_f32_e32 v1, 0xbf5db3d7, v8
	v_add_f32_e32 v8, v20, v36
	v_fmac_f32_e32 v20, -0.5, v9
	v_add_f32_e32 v3, v3, v11
	v_sub_f32_e32 v9, v37, v38
	v_mov_b32_e32 v10, v20
	v_add_f32_e32 v11, v37, v38
	v_fmac_f32_e32 v10, 0xbf5db3d7, v9
	v_fmac_f32_e32 v20, 0x3f5db3d7, v9
	v_add_f32_e32 v9, v21, v37
	v_fmac_f32_e32 v21, -0.5, v11
	v_add_f32_e32 v23, v57, v58
	v_add_f32_e32 v2, v44, v34
	v_sub_f32_e32 v33, v36, v39
	v_mov_b32_e32 v11, v21
	v_mov_b32_e32 v34, 3
	v_sub_f32_e32 v41, v55, v56
	v_add_f32_e32 v22, v6, v57
	v_fma_f32 v6, -0.5, v23, v6
	v_add_f32_e32 v23, v24, v35
	v_mov_b32_e32 v24, v14
	v_mov_b32_e32 v25, v15
	v_fmac_f32_e32 v11, 0x3f5db3d7, v33
	v_fmac_f32_e32 v21, 0xbf5db3d7, v33
	v_mul_u32_u24_e32 v33, 0x2d0, v49
	v_lshlrev_b32_sdwa v34, v34, v50 dst_sel:DWORD dst_unused:UNUSED_PAD src0_sel:DWORD src1_sel:BYTE_0
	v_fmac_f32_e32 v24, 0xbf5db3d7, v40
	v_fmac_f32_e32 v25, 0x3f5db3d7, v41
	v_add3_u32 v33, 0, v33, v34
	v_sub_f32_e32 v43, v57, v58
	v_fmac_f32_e32 v14, 0x3f5db3d7, v40
	v_fmac_f32_e32 v15, 0xbf5db3d7, v41
	v_mov_b32_e32 v26, v6
	v_mov_b32_e32 v27, v7
	ds_write2_b64 v33, v[12:13], v[24:25] offset1:30
	ds_write_b64 v33, v[14:15] offset:480
	v_mul_u32_u24_e32 v12, 0x2d0, v51
	v_lshlrev_b32_e32 v13, 3, v52
	v_add_f32_e32 v22, v22, v58
	v_fmac_f32_e32 v6, 0x3f5db3d7, v42
	v_fmac_f32_e32 v7, 0xbf5db3d7, v43
	;; [unrolled: 1-line block ×4, first 2 shown]
	v_add3_u32 v12, 0, v12, v13
	ds_write2_b64 v12, v[22:23], v[26:27] offset1:30
	ds_write_b64 v12, v[6:7] offset:480
	v_mul_u32_u24_e32 v6, 0x2d0, v53
	v_lshlrev_b32_e32 v7, 3, v54
	v_add_f32_e32 v8, v8, v39
	v_add_f32_e32 v9, v9, v38
	v_add3_u32 v6, 0, v6, v7
	ds_write2_b64 v6, v[2:3], v[4:5] offset1:30
	ds_write_b64 v6, v[0:1] offset:480
	s_and_saveexec_b64 s[4:5], s[2:3]
	s_cbranch_execz .LBB0_25
; %bb.24:
	v_mul_lo_u16_e32 v6, 0x5a, v28
	v_lshlrev_b32_e32 v7, 3, v29
	v_lshlrev_b32_e32 v6, 3, v6
	v_add3_u32 v6, 0, v7, v6
	ds_write2_b64 v6, v[8:9], v[10:11] offset1:30
	ds_write_b64 v6, v[20:21] offset:480
.LBB0_25:
	s_or_b64 exec, exec, s[4:5]
	s_waitcnt lgkmcnt(0)
	s_barrier
	ds_read_b64 v[6:7], v30
	ds_read_b64 v[26:27], v30 offset:2160
	ds_read_b64 v[24:25], v30 offset:4320
	;; [unrolled: 1-line block ×5, first 2 shown]
	s_movk_i32 s4, 0x6c
	v_cmp_gt_u32_e32 vcc, s4, v16
	s_and_saveexec_b64 s[4:5], vcc
	s_cbranch_execz .LBB0_27
; %bb.26:
	ds_read_b64 v[2:3], v30 offset:1296
	ds_read_b64 v[4:5], v30 offset:3456
	;; [unrolled: 1-line block ×6, first 2 shown]
.LBB0_27:
	s_or_b64 exec, exec, s[4:5]
	s_movk_i32 s4, 0x5a
	v_add_u32_e32 v28, 0xffffffa6, v16
	v_cmp_gt_u32_e64 s[4:5], s4, v16
	v_cndmask_b32_e64 v53, v28, v16, s[4:5]
	v_mul_i32_i24_e32 v28, 5, v53
	v_mov_b32_e32 v29, 0
	v_lshlrev_b64 v[28:29], 3, v[28:29]
	v_mov_b32_e32 v33, s9
	v_add_co_u32_e64 v28, s[4:5], s8, v28
	v_addc_co_u32_e64 v29, s[4:5], v33, v29, s[4:5]
	s_movk_i32 s4, 0x2d83
	global_load_dwordx4 v[33:36], v[28:29], off offset:640
	global_load_dwordx4 v[37:40], v[28:29], off offset:656
	global_load_dwordx2 v[49:50], v[28:29], off offset:672
	v_mul_u32_u24_sdwa v28, v31, s4 dst_sel:DWORD dst_unused:UNUSED_PAD src0_sel:WORD_0 src1_sel:DWORD
	v_lshrrev_b32_e32 v28, 20, v28
	v_mul_lo_u16_e32 v29, 0x5a, v28
	v_sub_u16_e32 v29, v31, v29
	v_mul_u32_u24_e32 v41, 5, v29
	v_lshlrev_b32_e32 v54, 3, v41
	global_load_dwordx4 v[41:44], v54, s[8:9] offset:640
	global_load_dwordx4 v[45:48], v54, s[8:9] offset:656
	global_load_dwordx2 v[51:52], v54, s[8:9] offset:672
	s_movk_i32 s4, 0x59
	v_cmp_lt_u32_e64 s[4:5], s4, v16
	s_waitcnt vmcnt(0) lgkmcnt(0)
	s_barrier
	v_mul_f32_e32 v54, v34, v27
	v_mul_f32_e32 v34, v34, v26
	;; [unrolled: 1-line block ×7, first 2 shown]
	v_fmac_f32_e32 v54, v33, v26
	v_fma_f32 v27, v33, v27, -v34
	v_mul_f32_e32 v26, v50, v13
	v_mul_f32_e32 v33, v50, v12
	;; [unrolled: 1-line block ×3, first 2 shown]
	v_fmac_f32_e32 v55, v35, v24
	v_fmac_f32_e32 v56, v37, v22
	v_fma_f32 v22, v37, v23, -v38
	v_fmac_f32_e32 v57, v39, v14
	v_fma_f32 v14, v39, v15, -v40
	;; [unrolled: 2-line block ×3, first 2 shown]
	v_mul_f32_e32 v23, v5, v42
	v_mul_f32_e32 v13, v4, v42
	;; [unrolled: 1-line block ×3, first 2 shown]
	v_fma_f32 v24, v35, v25, -v36
	v_mul_f32_e32 v25, v1, v44
	v_mul_f32_e32 v40, v11, v48
	;; [unrolled: 1-line block ×3, first 2 shown]
	v_fmac_f32_e32 v23, v4, v41
	v_fma_f32 v41, v5, v41, -v13
	v_fma_f32 v5, v1, v43, -v15
	v_add_f32_e32 v1, v55, v57
	v_mul_f32_e32 v39, v9, v46
	v_mul_f32_e32 v33, v8, v46
	;; [unrolled: 1-line block ×4, first 2 shown]
	v_fmac_f32_e32 v40, v10, v47
	v_fma_f32 v10, v21, v51, -v35
	v_add_f32_e32 v13, v24, v14
	v_add_f32_e32 v21, v56, v26
	v_fma_f32 v1, -0.5, v1, v6
	v_fmac_f32_e32 v39, v8, v45
	v_fma_f32 v8, v9, v45, -v33
	v_fma_f32 v9, v11, v47, -v34
	v_fmac_f32_e32 v42, v20, v51
	v_sub_f32_e32 v4, v24, v14
	v_add_f32_e32 v11, v7, v24
	v_add_f32_e32 v20, v54, v56
	v_sub_f32_e32 v24, v22, v12
	v_add_f32_e32 v33, v27, v22
	v_add_f32_e32 v22, v22, v12
	v_fmac_f32_e32 v7, -0.5, v13
	v_fmac_f32_e32 v54, -0.5, v21
	v_mov_b32_e32 v21, v1
	v_sub_f32_e32 v15, v55, v57
	v_fmac_f32_e32 v1, 0x3f5db3d7, v4
	v_mov_b32_e32 v36, v7
	v_fmac_f32_e32 v21, 0xbf5db3d7, v4
	v_fmac_f32_e32 v27, -0.5, v22
	v_sub_f32_e32 v4, v56, v26
	v_fmac_f32_e32 v7, 0xbf5db3d7, v15
	v_fmac_f32_e32 v36, 0x3f5db3d7, v15
	v_mov_b32_e32 v15, v27
	v_fmac_f32_e32 v27, 0xbf5db3d7, v4
	v_fmac_f32_e32 v25, v0, v43
	v_add_f32_e32 v0, v6, v55
	v_add_f32_e32 v6, v11, v14
	v_add_f32_e32 v11, v20, v26
	v_add_f32_e32 v20, v33, v12
	v_mov_b32_e32 v33, v54
	v_fmac_f32_e32 v54, 0x3f5db3d7, v24
	v_mul_f32_e32 v22, 0xbf5db3d7, v27
	v_fmac_f32_e32 v15, 0x3f5db3d7, v4
	v_fmac_f32_e32 v22, -0.5, v54
	v_add_f32_e32 v0, v0, v57
	v_fmac_f32_e32 v33, 0xbf5db3d7, v24
	v_mul_f32_e32 v4, 0xbf5db3d7, v15
	v_add_f32_e32 v26, v1, v22
	v_mul_f32_e32 v24, 0.5, v15
	v_sub_f32_e32 v37, v1, v22
	v_add_f32_e32 v1, v25, v40
	v_add_f32_e32 v12, v0, v11
	v_fmac_f32_e32 v4, 0.5, v33
	v_fmac_f32_e32 v24, 0x3f5db3d7, v33
	v_sub_f32_e32 v33, v0, v11
	v_add_f32_e32 v0, v2, v25
	v_fmac_f32_e32 v2, -0.5, v1
	v_add_f32_e32 v14, v21, v4
	v_sub_f32_e32 v35, v21, v4
	v_sub_f32_e32 v4, v5, v9
	v_mov_b32_e32 v1, v2
	v_mul_f32_e32 v38, -0.5, v27
	v_fmac_f32_e32 v1, 0xbf5db3d7, v4
	v_fmac_f32_e32 v2, 0x3f5db3d7, v4
	v_add_f32_e32 v4, v3, v5
	v_add_f32_e32 v5, v5, v9
	v_fmac_f32_e32 v38, 0x3f5db3d7, v54
	v_fmac_f32_e32 v3, -0.5, v5
	v_add_f32_e32 v13, v6, v20
	v_add_f32_e32 v27, v7, v38
	v_sub_f32_e32 v34, v6, v20
	v_sub_f32_e32 v38, v7, v38
	;; [unrolled: 1-line block ×3, first 2 shown]
	v_mov_b32_e32 v5, v3
	v_add_f32_e32 v7, v39, v42
	v_fmac_f32_e32 v5, 0x3f5db3d7, v6
	v_fmac_f32_e32 v3, 0xbf5db3d7, v6
	v_add_f32_e32 v6, v23, v39
	v_fmac_f32_e32 v23, -0.5, v7
	v_sub_f32_e32 v7, v8, v10
	v_mov_b32_e32 v11, v23
	v_fmac_f32_e32 v11, 0xbf5db3d7, v7
	v_fmac_f32_e32 v23, 0x3f5db3d7, v7
	v_add_f32_e32 v7, v41, v8
	v_add_f32_e32 v8, v8, v10
	v_fmac_f32_e32 v41, -0.5, v8
	v_add_f32_e32 v7, v7, v10
	v_sub_f32_e32 v8, v39, v42
	v_mov_b32_e32 v10, v41
	v_fmac_f32_e32 v10, 0x3f5db3d7, v8
	v_mov_b32_e32 v39, 0x10e0
	v_add_f32_e32 v0, v0, v40
	v_fmac_f32_e32 v41, 0xbf5db3d7, v8
	v_mul_f32_e32 v8, 0xbf5db3d7, v10
	v_mul_f32_e32 v10, 0.5, v10
	v_cndmask_b32_e64 v39, 0, v39, s[4:5]
	v_lshlrev_b32_e32 v40, 3, v53
	v_add_f32_e32 v15, v36, v24
	v_add_f32_e32 v4, v4, v9
	v_fmac_f32_e32 v8, 0.5, v11
	v_mul_f32_e32 v9, 0xbf5db3d7, v41
	v_fmac_f32_e32 v10, 0x3f5db3d7, v11
	v_mul_f32_e32 v11, -0.5, v41
	v_add3_u32 v39, 0, v39, v40
	v_add_f32_e32 v6, v6, v42
	v_fmac_f32_e32 v9, -0.5, v23
	v_fmac_f32_e32 v11, 0x3f5db3d7, v23
	ds_write2_b64 v39, v[12:13], v[14:15] offset1:90
	v_add_u32_e32 v12, 0x400, v39
	v_sub_f32_e32 v36, v36, v24
	v_sub_f32_e32 v20, v0, v6
	;; [unrolled: 1-line block ×7, first 2 shown]
	ds_write2_b64 v12, v[26:27], v[33:34] offset0:52 offset1:142
	v_add_u32_e32 v12, 0x800, v39
	ds_write2_b64 v12, v[35:36], v[37:38] offset0:104 offset1:194
	s_and_saveexec_b64 s[4:5], vcc
	s_cbranch_execz .LBB0_29
; %bb.28:
	v_add_f32_e32 v6, v0, v6
	v_mul_lo_u16_e32 v0, 0x21c, v28
	v_add_f32_e32 v7, v4, v7
	v_add_f32_e32 v4, v1, v8
	v_lshlrev_b32_e32 v1, 3, v29
	v_lshlrev_b32_e32 v0, 3, v0
	v_add_f32_e32 v5, v5, v10
	v_add3_u32 v0, 0, v1, v0
	v_add_f32_e32 v3, v3, v11
	v_add_f32_e32 v2, v2, v9
	ds_write2_b64 v0, v[6:7], v[4:5] offset1:90
	v_add_u32_e32 v1, 0x400, v0
	v_add_u32_e32 v0, 0x800, v0
	ds_write2_b64 v1, v[2:3], v[20:21] offset0:52 offset1:142
	ds_write2_b64 v0, v[22:23], v[24:25] offset0:104 offset1:194
.LBB0_29:
	s_or_b64 exec, exec, s[4:5]
	v_add_u32_e32 v33, 0xa00, v30
	v_add_u32_e32 v35, 0x2000, v30
	;; [unrolled: 1-line block ×3, first 2 shown]
	s_waitcnt lgkmcnt(0)
	s_barrier
	ds_read2_b64 v[4:7], v30 offset1:162
	ds_read2_b64 v[0:3], v33 offset0:4 offset1:220
	ds_read2_b64 v[12:15], v35 offset0:56 offset1:218
	;; [unrolled: 1-line block ×3, first 2 shown]
	ds_read_b64 v[28:29], v30 offset:11232
	s_and_saveexec_b64 s[4:5], s[2:3]
	s_cbranch_execz .LBB0_31
; %bb.30:
	ds_read_b64 v[20:21], v30 offset:3888
	ds_read_b64 v[22:23], v30 offset:8208
	;; [unrolled: 1-line block ×3, first 2 shown]
.LBB0_31:
	s_or_b64 exec, exec, s[4:5]
	v_lshlrev_b32_e32 v26, 1, v16
	v_mov_b32_e32 v27, 0
	v_lshlrev_b64 v[36:37], 3, v[26:27]
	v_mov_b32_e32 v44, s9
	v_add_co_u32_e32 v26, vcc, s8, v36
	v_addc_co_u32_e32 v37, vcc, v44, v37, vcc
	v_add_co_u32_e32 v36, vcc, 0x1000, v26
	v_lshlrev_b32_e32 v26, 1, v31
	v_lshlrev_b64 v[40:41], 3, v[26:27]
	v_addc_co_u32_e32 v37, vcc, 0, v37, vcc
	v_add_co_u32_e32 v26, vcc, s8, v40
	s_movk_i32 s4, 0x1000
	v_addc_co_u32_e32 v31, vcc, v44, v41, vcc
	v_add_co_u32_e32 v40, vcc, s4, v26
	v_lshlrev_b32_e32 v26, 1, v32
	v_addc_co_u32_e32 v41, vcc, 0, v31, vcc
	v_lshlrev_b64 v[31:32], 3, v[26:27]
	global_load_dwordx4 v[36:39], v[36:37], off offset:144
	v_add_co_u32_e32 v26, vcc, s8, v31
	v_addc_co_u32_e32 v32, vcc, v44, v32, vcc
	v_add_co_u32_e32 v31, vcc, s4, v26
	v_addc_co_u32_e32 v32, vcc, 0, v32, vcc
	global_load_dwordx4 v[44:47], v[31:32], off offset:144
	s_waitcnt vmcnt(1) lgkmcnt(3)
	v_mul_f32_e32 v26, v37, v3
	global_load_dwordx4 v[40:43], v[40:41], off offset:144
	v_mul_f32_e32 v31, v37, v2
	s_waitcnt lgkmcnt(2)
	v_mul_f32_e32 v37, v39, v12
	v_mul_f32_e32 v32, v39, v13
	v_fmac_f32_e32 v26, v36, v2
	v_fma_f32 v2, v36, v3, -v31
	v_fma_f32 v3, v38, v13, -v37
	v_fmac_f32_e32 v32, v38, v12
	s_waitcnt vmcnt(1) lgkmcnt(0)
	v_mul_f32_e32 v13, v47, v28
	v_mul_f32_e32 v12, v45, v10
	;; [unrolled: 1-line block ×3, first 2 shown]
	v_fma_f32 v29, v46, v29, -v13
	v_add_f32_e32 v13, v2, v3
	v_mul_f32_e32 v31, v45, v11
	v_fma_f32 v37, v44, v11, -v12
	v_add_f32_e32 v11, v26, v32
	v_add_f32_e32 v12, v5, v2
	v_fma_f32 v5, -0.5, v13, v5
	v_fmac_f32_e32 v31, v44, v10
	v_fmac_f32_e32 v36, v46, v28
	v_add_f32_e32 v10, v4, v26
	v_fma_f32 v4, -0.5, v11, v4
	v_mov_b32_e32 v11, v5
	s_waitcnt vmcnt(0)
	s_barrier
	v_mul_f32_e32 v39, v41, v9
	v_mul_f32_e32 v41, v41, v8
	v_mul_f32_e32 v48, v43, v15
	v_mul_f32_e32 v43, v43, v14
	v_fmac_f32_e32 v39, v40, v8
	v_fma_f32 v8, v40, v9, -v41
	v_fma_f32 v9, v42, v15, -v43
	v_sub_f32_e32 v15, v26, v32
	v_fmac_f32_e32 v48, v42, v14
	v_sub_f32_e32 v14, v2, v3
	v_add_f32_e32 v2, v10, v32
	v_mov_b32_e32 v10, v4
	v_fmac_f32_e32 v5, 0xbf5db3d7, v15
	v_fmac_f32_e32 v11, 0x3f5db3d7, v15
	v_add_f32_e32 v15, v31, v36
	v_add_f32_e32 v26, v6, v39
	;; [unrolled: 1-line block ×3, first 2 shown]
	v_fmac_f32_e32 v4, 0x3f5db3d7, v14
	v_fmac_f32_e32 v10, 0xbf5db3d7, v14
	v_add_f32_e32 v14, v0, v31
	v_fma_f32 v0, -0.5, v15, v0
	v_sub_f32_e32 v38, v8, v9
	v_add_f32_e32 v40, v7, v8
	v_add_f32_e32 v41, v8, v9
	;; [unrolled: 1-line block ×3, first 2 shown]
	v_fma_f32 v6, -0.5, v28, v6
	v_sub_f32_e32 v15, v37, v29
	v_mov_b32_e32 v28, v0
	v_add_f32_e32 v26, v37, v29
	v_fmac_f32_e32 v7, -0.5, v41
	v_fmac_f32_e32 v28, 0xbf5db3d7, v15
	v_fmac_f32_e32 v0, 0x3f5db3d7, v15
	v_add_f32_e32 v15, v1, v37
	v_fmac_f32_e32 v1, -0.5, v26
	v_sub_f32_e32 v39, v39, v48
	v_add_f32_e32 v3, v12, v3
	v_add_f32_e32 v9, v40, v9
	v_mov_b32_e32 v12, v6
	v_mov_b32_e32 v13, v7
	v_add_f32_e32 v15, v15, v29
	v_sub_f32_e32 v26, v31, v36
	v_mov_b32_e32 v29, v1
	v_fmac_f32_e32 v6, 0x3f5db3d7, v38
	v_fmac_f32_e32 v12, 0xbf5db3d7, v38
	;; [unrolled: 1-line block ×4, first 2 shown]
	v_add_f32_e32 v14, v14, v36
	v_fmac_f32_e32 v29, 0x3f5db3d7, v26
	v_fmac_f32_e32 v1, 0xbf5db3d7, v26
	ds_write2_b64 v30, v[2:3], v[8:9] offset1:162
	ds_write2_b64 v35, v[4:5], v[6:7] offset0:56 offset1:218
	ds_write2_b64 v33, v[14:15], v[10:11] offset0:4 offset1:220
	;; [unrolled: 1-line block ×3, first 2 shown]
	ds_write_b64 v30, v[0:1] offset:11232
	s_and_saveexec_b64 s[4:5], s[2:3]
	s_cbranch_execz .LBB0_33
; %bb.32:
	v_subrev_u32_e32 v0, 54, v16
	v_cndmask_b32_e64 v0, v0, v17, s[2:3]
	v_lshlrev_b32_e32 v26, 1, v0
	v_lshlrev_b64 v[0:1], 3, v[26:27]
	v_mov_b32_e32 v2, s9
	v_add_co_u32_e32 v0, vcc, s8, v0
	v_addc_co_u32_e32 v1, vcc, v2, v1, vcc
	v_add_co_u32_e32 v0, vcc, 0x1000, v0
	v_addc_co_u32_e32 v1, vcc, 0, v1, vcc
	global_load_dwordx4 v[0:3], v[0:1], off offset:144
	s_waitcnt vmcnt(0)
	v_mul_f32_e32 v4, v22, v1
	v_mul_f32_e32 v5, v24, v3
	;; [unrolled: 1-line block ×4, first 2 shown]
	v_fma_f32 v3, v23, v0, -v4
	v_fma_f32 v4, v25, v2, -v5
	v_fmac_f32_e32 v1, v22, v0
	v_fmac_f32_e32 v6, v24, v2
	v_add_f32_e32 v0, v3, v4
	v_add_f32_e32 v5, v1, v6
	v_sub_f32_e32 v7, v1, v6
	v_add_f32_e32 v2, v21, v3
	v_sub_f32_e32 v8, v3, v4
	v_add_f32_e32 v9, v20, v1
	v_fma_f32 v1, -0.5, v0, v21
	v_fma_f32 v0, -0.5, v5, v20
	v_add_f32_e32 v3, v2, v4
	v_add_f32_e32 v2, v9, v6
	v_mov_b32_e32 v5, v1
	v_fmac_f32_e32 v1, 0x3f5db3d7, v7
	v_mov_b32_e32 v4, v0
	v_fmac_f32_e32 v0, 0xbf5db3d7, v8
	ds_write_b64 v30, v[2:3] offset:3888
	v_fmac_f32_e32 v5, 0xbf5db3d7, v7
	v_fmac_f32_e32 v4, 0x3f5db3d7, v8
	ds_write_b64 v30, v[0:1] offset:8208
	ds_write_b64 v30, v[4:5] offset:12528
.LBB0_33:
	s_or_b64 exec, exec, s[4:5]
	s_waitcnt lgkmcnt(0)
	s_barrier
	s_and_saveexec_b64 s[2:3], s[0:1]
	s_cbranch_execz .LBB0_35
; %bb.34:
	v_lshl_add_u32 v6, v16, 3, 0
	v_mov_b32_e32 v17, 0
	ds_read2_b64 v[0:3], v6 offset1:162
	v_mov_b32_e32 v4, s13
	v_add_co_u32_e32 v7, vcc, s12, v18
	v_addc_co_u32_e32 v8, vcc, v4, v19, vcc
	v_lshlrev_b64 v[4:5], 3, v[16:17]
	v_add_co_u32_e32 v4, vcc, v7, v4
	v_addc_co_u32_e32 v5, vcc, v8, v5, vcc
	s_waitcnt lgkmcnt(0)
	global_store_dwordx2 v[4:5], v[0:1], off
	v_add_u32_e32 v0, 0xa2, v16
	v_mov_b32_e32 v1, v17
	v_lshlrev_b64 v[0:1], 3, v[0:1]
	v_add_u32_e32 v4, 0x144, v16
	v_add_co_u32_e32 v0, vcc, v7, v0
	v_addc_co_u32_e32 v1, vcc, v8, v1, vcc
	global_store_dwordx2 v[0:1], v[2:3], off
	v_add_u32_e32 v0, 0x800, v6
	v_mov_b32_e32 v5, v17
	ds_read2_b64 v[0:3], v0 offset0:68 offset1:230
	v_lshlrev_b64 v[4:5], 3, v[4:5]
	v_add_co_u32_e32 v4, vcc, v7, v4
	v_addc_co_u32_e32 v5, vcc, v8, v5, vcc
	s_waitcnt lgkmcnt(0)
	global_store_dwordx2 v[4:5], v[0:1], off
	v_add_u32_e32 v0, 0x1e6, v16
	v_mov_b32_e32 v1, v17
	v_lshlrev_b64 v[0:1], 3, v[0:1]
	v_add_u32_e32 v4, 0x288, v16
	v_add_co_u32_e32 v0, vcc, v7, v0
	v_addc_co_u32_e32 v1, vcc, v8, v1, vcc
	global_store_dwordx2 v[0:1], v[2:3], off
	v_add_u32_e32 v0, 0x1400, v6
	v_mov_b32_e32 v5, v17
	ds_read2_b64 v[0:3], v0 offset0:8 offset1:170
	;; [unrolled: 15-line block ×4, first 2 shown]
	v_lshlrev_b64 v[4:5], 3, v[4:5]
	v_add_u32_e32 v16, 0x5b2, v16
	v_add_co_u32_e32 v4, vcc, v7, v4
	v_addc_co_u32_e32 v5, vcc, v8, v5, vcc
	s_waitcnt lgkmcnt(0)
	global_store_dwordx2 v[4:5], v[0:1], off
	v_lshlrev_b64 v[0:1], 3, v[16:17]
	v_add_co_u32_e32 v0, vcc, v7, v0
	v_addc_co_u32_e32 v1, vcc, v8, v1, vcc
	global_store_dwordx2 v[0:1], v[2:3], off
.LBB0_35:
	s_endpgm
	.section	.rodata,"a",@progbits
	.p2align	6, 0x0
	.amdhsa_kernel fft_rtc_back_len1620_factors_10_3_3_6_3_wgs_162_tpt_162_halfLds_sp_ip_CI_unitstride_sbrr_C2R_dirReg
		.amdhsa_group_segment_fixed_size 0
		.amdhsa_private_segment_fixed_size 0
		.amdhsa_kernarg_size 88
		.amdhsa_user_sgpr_count 6
		.amdhsa_user_sgpr_private_segment_buffer 1
		.amdhsa_user_sgpr_dispatch_ptr 0
		.amdhsa_user_sgpr_queue_ptr 0
		.amdhsa_user_sgpr_kernarg_segment_ptr 1
		.amdhsa_user_sgpr_dispatch_id 0
		.amdhsa_user_sgpr_flat_scratch_init 0
		.amdhsa_user_sgpr_private_segment_size 0
		.amdhsa_uses_dynamic_stack 0
		.amdhsa_system_sgpr_private_segment_wavefront_offset 0
		.amdhsa_system_sgpr_workgroup_id_x 1
		.amdhsa_system_sgpr_workgroup_id_y 0
		.amdhsa_system_sgpr_workgroup_id_z 0
		.amdhsa_system_sgpr_workgroup_info 0
		.amdhsa_system_vgpr_workitem_id 0
		.amdhsa_next_free_vgpr 59
		.amdhsa_next_free_sgpr 22
		.amdhsa_reserve_vcc 1
		.amdhsa_reserve_flat_scratch 0
		.amdhsa_float_round_mode_32 0
		.amdhsa_float_round_mode_16_64 0
		.amdhsa_float_denorm_mode_32 3
		.amdhsa_float_denorm_mode_16_64 3
		.amdhsa_dx10_clamp 1
		.amdhsa_ieee_mode 1
		.amdhsa_fp16_overflow 0
		.amdhsa_exception_fp_ieee_invalid_op 0
		.amdhsa_exception_fp_denorm_src 0
		.amdhsa_exception_fp_ieee_div_zero 0
		.amdhsa_exception_fp_ieee_overflow 0
		.amdhsa_exception_fp_ieee_underflow 0
		.amdhsa_exception_fp_ieee_inexact 0
		.amdhsa_exception_int_div_zero 0
	.end_amdhsa_kernel
	.text
.Lfunc_end0:
	.size	fft_rtc_back_len1620_factors_10_3_3_6_3_wgs_162_tpt_162_halfLds_sp_ip_CI_unitstride_sbrr_C2R_dirReg, .Lfunc_end0-fft_rtc_back_len1620_factors_10_3_3_6_3_wgs_162_tpt_162_halfLds_sp_ip_CI_unitstride_sbrr_C2R_dirReg
                                        ; -- End function
	.section	.AMDGPU.csdata,"",@progbits
; Kernel info:
; codeLenInByte = 7652
; NumSgprs: 26
; NumVgprs: 59
; ScratchSize: 0
; MemoryBound: 0
; FloatMode: 240
; IeeeMode: 1
; LDSByteSize: 0 bytes/workgroup (compile time only)
; SGPRBlocks: 3
; VGPRBlocks: 14
; NumSGPRsForWavesPerEU: 26
; NumVGPRsForWavesPerEU: 59
; Occupancy: 4
; WaveLimiterHint : 1
; COMPUTE_PGM_RSRC2:SCRATCH_EN: 0
; COMPUTE_PGM_RSRC2:USER_SGPR: 6
; COMPUTE_PGM_RSRC2:TRAP_HANDLER: 0
; COMPUTE_PGM_RSRC2:TGID_X_EN: 1
; COMPUTE_PGM_RSRC2:TGID_Y_EN: 0
; COMPUTE_PGM_RSRC2:TGID_Z_EN: 0
; COMPUTE_PGM_RSRC2:TIDIG_COMP_CNT: 0
	.type	__hip_cuid_b6bf9d7640788587,@object ; @__hip_cuid_b6bf9d7640788587
	.section	.bss,"aw",@nobits
	.globl	__hip_cuid_b6bf9d7640788587
__hip_cuid_b6bf9d7640788587:
	.byte	0                               ; 0x0
	.size	__hip_cuid_b6bf9d7640788587, 1

	.ident	"AMD clang version 19.0.0git (https://github.com/RadeonOpenCompute/llvm-project roc-6.4.0 25133 c7fe45cf4b819c5991fe208aaa96edf142730f1d)"
	.section	".note.GNU-stack","",@progbits
	.addrsig
	.addrsig_sym __hip_cuid_b6bf9d7640788587
	.amdgpu_metadata
---
amdhsa.kernels:
  - .args:
      - .actual_access:  read_only
        .address_space:  global
        .offset:         0
        .size:           8
        .value_kind:     global_buffer
      - .offset:         8
        .size:           8
        .value_kind:     by_value
      - .actual_access:  read_only
        .address_space:  global
        .offset:         16
        .size:           8
        .value_kind:     global_buffer
      - .actual_access:  read_only
        .address_space:  global
        .offset:         24
        .size:           8
        .value_kind:     global_buffer
      - .offset:         32
        .size:           8
        .value_kind:     by_value
      - .actual_access:  read_only
        .address_space:  global
        .offset:         40
        .size:           8
        .value_kind:     global_buffer
      - .actual_access:  read_only
        .address_space:  global
        .offset:         48
        .size:           8
        .value_kind:     global_buffer
      - .offset:         56
        .size:           4
        .value_kind:     by_value
      - .actual_access:  read_only
        .address_space:  global
        .offset:         64
        .size:           8
        .value_kind:     global_buffer
      - .actual_access:  read_only
        .address_space:  global
        .offset:         72
        .size:           8
        .value_kind:     global_buffer
      - .address_space:  global
        .offset:         80
        .size:           8
        .value_kind:     global_buffer
    .group_segment_fixed_size: 0
    .kernarg_segment_align: 8
    .kernarg_segment_size: 88
    .language:       OpenCL C
    .language_version:
      - 2
      - 0
    .max_flat_workgroup_size: 162
    .name:           fft_rtc_back_len1620_factors_10_3_3_6_3_wgs_162_tpt_162_halfLds_sp_ip_CI_unitstride_sbrr_C2R_dirReg
    .private_segment_fixed_size: 0
    .sgpr_count:     26
    .sgpr_spill_count: 0
    .symbol:         fft_rtc_back_len1620_factors_10_3_3_6_3_wgs_162_tpt_162_halfLds_sp_ip_CI_unitstride_sbrr_C2R_dirReg.kd
    .uniform_work_group_size: 1
    .uses_dynamic_stack: false
    .vgpr_count:     59
    .vgpr_spill_count: 0
    .wavefront_size: 64
amdhsa.target:   amdgcn-amd-amdhsa--gfx906
amdhsa.version:
  - 1
  - 2
...

	.end_amdgpu_metadata
